;; amdgpu-corpus repo=ROCm/rocFFT kind=compiled arch=gfx950 opt=O3
	.text
	.amdgcn_target "amdgcn-amd-amdhsa--gfx950"
	.amdhsa_code_object_version 6
	.protected	fft_rtc_fwd_len1800_factors_10_6_10_3_wgs_180_tpt_180_halfLds_sp_ip_CI_sbrr_dirReg ; -- Begin function fft_rtc_fwd_len1800_factors_10_6_10_3_wgs_180_tpt_180_halfLds_sp_ip_CI_sbrr_dirReg
	.globl	fft_rtc_fwd_len1800_factors_10_6_10_3_wgs_180_tpt_180_halfLds_sp_ip_CI_sbrr_dirReg
	.p2align	8
	.type	fft_rtc_fwd_len1800_factors_10_6_10_3_wgs_180_tpt_180_halfLds_sp_ip_CI_sbrr_dirReg,@function
fft_rtc_fwd_len1800_factors_10_6_10_3_wgs_180_tpt_180_halfLds_sp_ip_CI_sbrr_dirReg: ; @fft_rtc_fwd_len1800_factors_10_6_10_3_wgs_180_tpt_180_halfLds_sp_ip_CI_sbrr_dirReg
; %bb.0:
	s_load_dwordx2 s[12:13], s[0:1], 0x18
	s_load_dwordx4 s[4:7], s[0:1], 0x0
	s_load_dwordx2 s[10:11], s[0:1], 0x50
	v_mul_u32_u24_e32 v1, 0x16d, v0
	v_add_u32_sdwa v6, s2, v1 dst_sel:DWORD dst_unused:UNUSED_PAD src0_sel:DWORD src1_sel:WORD_1
	s_waitcnt lgkmcnt(0)
	s_load_dwordx2 s[8:9], s[12:13], 0x0
	v_mov_b32_e32 v4, 0
	v_cmp_lt_u64_e64 s[2:3], s[6:7], 2
	v_mov_b32_e32 v7, v4
	s_and_b64 vcc, exec, s[2:3]
	v_mov_b64_e32 v[2:3], 0
	s_cbranch_vccnz .LBB0_8
; %bb.1:
	s_load_dwordx2 s[2:3], s[0:1], 0x10
	s_add_u32 s14, s12, 8
	s_addc_u32 s15, s13, 0
	s_mov_b64 s[16:17], 1
	v_mov_b64_e32 v[2:3], 0
	s_waitcnt lgkmcnt(0)
	s_add_u32 s18, s2, 8
	s_addc_u32 s19, s3, 0
.LBB0_2:                                ; =>This Inner Loop Header: Depth=1
	s_load_dwordx2 s[20:21], s[18:19], 0x0
                                        ; implicit-def: $vgpr8_vgpr9
	s_waitcnt lgkmcnt(0)
	v_or_b32_e32 v5, s21, v7
	v_cmp_ne_u64_e32 vcc, 0, v[4:5]
	s_and_saveexec_b64 s[2:3], vcc
	s_xor_b64 s[22:23], exec, s[2:3]
	s_cbranch_execz .LBB0_4
; %bb.3:                                ;   in Loop: Header=BB0_2 Depth=1
	v_cvt_f32_u32_e32 v1, s20
	v_cvt_f32_u32_e32 v5, s21
	s_sub_u32 s2, 0, s20
	s_subb_u32 s3, 0, s21
	v_fmac_f32_e32 v1, 0x4f800000, v5
	v_rcp_f32_e32 v1, v1
	s_nop 0
	v_mul_f32_e32 v1, 0x5f7ffffc, v1
	v_mul_f32_e32 v5, 0x2f800000, v1
	v_trunc_f32_e32 v5, v5
	v_fmac_f32_e32 v1, 0xcf800000, v5
	v_cvt_u32_f32_e32 v5, v5
	v_cvt_u32_f32_e32 v1, v1
	v_mul_lo_u32 v8, s2, v5
	v_mul_hi_u32 v10, s2, v1
	v_mul_lo_u32 v9, s3, v1
	v_add_u32_e32 v10, v10, v8
	v_mul_lo_u32 v12, s2, v1
	v_add_u32_e32 v13, v10, v9
	v_mul_hi_u32 v8, v1, v12
	v_mul_hi_u32 v11, v1, v13
	v_mul_lo_u32 v10, v1, v13
	v_mov_b32_e32 v9, v4
	v_lshl_add_u64 v[8:9], v[8:9], 0, v[10:11]
	v_mul_hi_u32 v11, v5, v12
	v_mul_lo_u32 v12, v5, v12
	v_add_co_u32_e32 v8, vcc, v8, v12
	v_mul_hi_u32 v10, v5, v13
	s_nop 0
	v_addc_co_u32_e32 v8, vcc, v9, v11, vcc
	v_mov_b32_e32 v9, v4
	s_nop 0
	v_addc_co_u32_e32 v11, vcc, 0, v10, vcc
	v_mul_lo_u32 v10, v5, v13
	v_lshl_add_u64 v[8:9], v[8:9], 0, v[10:11]
	v_add_co_u32_e32 v1, vcc, v1, v8
	v_mul_lo_u32 v10, s2, v1
	s_nop 0
	v_addc_co_u32_e32 v5, vcc, v5, v9, vcc
	v_mul_lo_u32 v8, s2, v5
	v_mul_hi_u32 v9, s2, v1
	v_add_u32_e32 v8, v9, v8
	v_mul_lo_u32 v9, s3, v1
	v_add_u32_e32 v12, v8, v9
	v_mul_hi_u32 v14, v5, v10
	v_mul_lo_u32 v15, v5, v10
	v_mul_hi_u32 v9, v1, v12
	v_mul_lo_u32 v8, v1, v12
	v_mul_hi_u32 v10, v1, v10
	v_mov_b32_e32 v11, v4
	v_lshl_add_u64 v[8:9], v[10:11], 0, v[8:9]
	v_add_co_u32_e32 v8, vcc, v8, v15
	v_mul_hi_u32 v13, v5, v12
	s_nop 0
	v_addc_co_u32_e32 v8, vcc, v9, v14, vcc
	v_mul_lo_u32 v10, v5, v12
	s_nop 0
	v_addc_co_u32_e32 v11, vcc, 0, v13, vcc
	v_mov_b32_e32 v9, v4
	v_lshl_add_u64 v[8:9], v[8:9], 0, v[10:11]
	v_add_co_u32_e32 v1, vcc, v1, v8
	v_mul_hi_u32 v10, v6, v1
	s_nop 0
	v_addc_co_u32_e32 v5, vcc, v5, v9, vcc
	v_mad_u64_u32 v[8:9], s[2:3], v6, v5, 0
	v_mov_b32_e32 v11, v4
	v_lshl_add_u64 v[8:9], v[10:11], 0, v[8:9]
	v_mad_u64_u32 v[12:13], s[2:3], v7, v1, 0
	v_add_co_u32_e32 v1, vcc, v8, v12
	v_mad_u64_u32 v[10:11], s[2:3], v7, v5, 0
	s_nop 0
	v_addc_co_u32_e32 v8, vcc, v9, v13, vcc
	v_mov_b32_e32 v9, v4
	s_nop 0
	v_addc_co_u32_e32 v11, vcc, 0, v11, vcc
	v_lshl_add_u64 v[8:9], v[8:9], 0, v[10:11]
	v_mul_lo_u32 v1, s21, v8
	v_mul_lo_u32 v5, s20, v9
	v_mad_u64_u32 v[10:11], s[2:3], s20, v8, 0
	v_add3_u32 v1, v11, v5, v1
	v_sub_u32_e32 v5, v7, v1
	v_mov_b32_e32 v11, s21
	v_sub_co_u32_e32 v14, vcc, v6, v10
	v_lshl_add_u64 v[12:13], v[8:9], 0, 1
	s_nop 0
	v_subb_co_u32_e64 v5, s[2:3], v5, v11, vcc
	v_subrev_co_u32_e64 v10, s[2:3], s20, v14
	v_subb_co_u32_e32 v1, vcc, v7, v1, vcc
	s_nop 0
	v_subbrev_co_u32_e64 v5, s[2:3], 0, v5, s[2:3]
	v_cmp_le_u32_e64 s[2:3], s21, v5
	v_cmp_le_u32_e32 vcc, s21, v1
	s_nop 0
	v_cndmask_b32_e64 v11, 0, -1, s[2:3]
	v_cmp_le_u32_e64 s[2:3], s20, v10
	s_nop 1
	v_cndmask_b32_e64 v10, 0, -1, s[2:3]
	v_cmp_eq_u32_e64 s[2:3], s21, v5
	s_nop 1
	v_cndmask_b32_e64 v5, v11, v10, s[2:3]
	v_lshl_add_u64 v[10:11], v[8:9], 0, 2
	v_cmp_ne_u32_e64 s[2:3], 0, v5
	s_nop 1
	v_cndmask_b32_e64 v5, v13, v11, s[2:3]
	v_cndmask_b32_e64 v11, 0, -1, vcc
	v_cmp_le_u32_e32 vcc, s20, v14
	s_nop 1
	v_cndmask_b32_e64 v13, 0, -1, vcc
	v_cmp_eq_u32_e32 vcc, s21, v1
	s_nop 1
	v_cndmask_b32_e32 v1, v11, v13, vcc
	v_cmp_ne_u32_e32 vcc, 0, v1
	v_cndmask_b32_e64 v1, v12, v10, s[2:3]
	s_nop 0
	v_cndmask_b32_e32 v9, v9, v5, vcc
	v_cndmask_b32_e32 v8, v8, v1, vcc
.LBB0_4:                                ;   in Loop: Header=BB0_2 Depth=1
	s_andn2_saveexec_b64 s[2:3], s[22:23]
	s_cbranch_execz .LBB0_6
; %bb.5:                                ;   in Loop: Header=BB0_2 Depth=1
	v_cvt_f32_u32_e32 v1, s20
	s_sub_i32 s22, 0, s20
	v_rcp_iflag_f32_e32 v1, v1
	s_nop 0
	v_mul_f32_e32 v1, 0x4f7ffffe, v1
	v_cvt_u32_f32_e32 v1, v1
	v_mul_lo_u32 v5, s22, v1
	v_mul_hi_u32 v5, v1, v5
	v_add_u32_e32 v1, v1, v5
	v_mul_hi_u32 v1, v6, v1
	v_mul_lo_u32 v5, v1, s20
	v_sub_u32_e32 v5, v6, v5
	v_add_u32_e32 v8, 1, v1
	v_subrev_u32_e32 v9, s20, v5
	v_cmp_le_u32_e32 vcc, s20, v5
	s_nop 1
	v_cndmask_b32_e32 v5, v5, v9, vcc
	v_cndmask_b32_e32 v1, v1, v8, vcc
	v_add_u32_e32 v8, 1, v1
	v_cmp_le_u32_e32 vcc, s20, v5
	v_mov_b32_e32 v9, v4
	s_nop 0
	v_cndmask_b32_e32 v8, v1, v8, vcc
.LBB0_6:                                ;   in Loop: Header=BB0_2 Depth=1
	s_or_b64 exec, exec, s[2:3]
	v_mad_u64_u32 v[10:11], s[2:3], v8, s20, 0
	s_load_dwordx2 s[2:3], s[14:15], 0x0
	v_mul_lo_u32 v1, v9, s20
	v_mul_lo_u32 v5, v8, s21
	v_add3_u32 v1, v11, v5, v1
	v_sub_co_u32_e32 v5, vcc, v6, v10
	s_add_u32 s16, s16, 1
	s_nop 0
	v_subb_co_u32_e32 v1, vcc, v7, v1, vcc
	s_addc_u32 s17, s17, 0
	s_waitcnt lgkmcnt(0)
	v_mul_lo_u32 v1, s2, v1
	v_mul_lo_u32 v6, s3, v5
	v_mad_u64_u32 v[2:3], s[2:3], s2, v5, v[2:3]
	s_add_u32 s14, s14, 8
	v_add3_u32 v3, v6, v3, v1
	s_addc_u32 s15, s15, 0
	v_mov_b64_e32 v[6:7], s[6:7]
	s_add_u32 s18, s18, 8
	v_cmp_ge_u64_e32 vcc, s[16:17], v[6:7]
	s_addc_u32 s19, s19, 0
	s_cbranch_vccnz .LBB0_9
; %bb.7:                                ;   in Loop: Header=BB0_2 Depth=1
	v_mov_b64_e32 v[6:7], v[8:9]
	s_branch .LBB0_2
.LBB0_8:
	v_mov_b64_e32 v[8:9], v[6:7]
.LBB0_9:
	s_lshl_b64 s[2:3], s[6:7], 3
	s_add_u32 s2, s12, s2
	s_addc_u32 s3, s13, s3
	s_load_dwordx2 s[6:7], s[2:3], 0x0
	s_load_dwordx2 s[12:13], s[0:1], 0x20
	s_mov_b32 s2, 0x16c16c2
                                        ; implicit-def: $vgpr33
	s_waitcnt lgkmcnt(0)
	v_mul_lo_u32 v1, s6, v9
	v_mul_lo_u32 v4, s7, v8
	v_mad_u64_u32 v[2:3], s[0:1], s6, v8, v[2:3]
	v_add3_u32 v3, v4, v3, v1
	v_mul_hi_u32 v1, v0, s2
	v_mul_u32_u24_e32 v1, 0xb4, v1
	v_cmp_gt_u64_e32 vcc, s[12:13], v[8:9]
	v_cmp_le_u64_e64 s[0:1], s[12:13], v[8:9]
	v_sub_u32_e32 v32, v0, v1
	s_and_saveexec_b64 s[2:3], s[0:1]
	s_xor_b64 s[0:1], exec, s[2:3]
; %bb.10:
	v_add_u32_e32 v33, 0xb4, v32
; %bb.11:
	s_or_saveexec_b64 s[0:1], s[0:1]
	v_lshl_add_u64 v[0:1], v[2:3], 3, s[10:11]
                                        ; implicit-def: $vgpr8
                                        ; implicit-def: $vgpr2
                                        ; implicit-def: $vgpr12
                                        ; implicit-def: $vgpr22
                                        ; implicit-def: $vgpr20
                                        ; implicit-def: $vgpr6
                                        ; implicit-def: $vgpr26
                                        ; implicit-def: $vgpr4
                                        ; implicit-def: $vgpr16
                                        ; implicit-def: $vgpr18
                                        ; implicit-def: $vgpr10
	s_xor_b64 exec, exec, s[0:1]
	s_cbranch_execz .LBB0_13
; %bb.12:
	v_mad_u64_u32 v[2:3], s[2:3], s8, v32, 0
	v_mov_b32_e32 v4, v3
	v_mad_u64_u32 v[4:5], s[2:3], s9, v32, v[4:5]
	v_add_u32_e32 v33, 0xb4, v32
	v_mov_b32_e32 v3, v4
	v_mad_u64_u32 v[4:5], s[2:3], s8, v33, 0
	v_mov_b32_e32 v6, v5
	v_mad_u64_u32 v[6:7], s[2:3], s9, v33, v[6:7]
	v_mov_b32_e32 v5, v6
	v_add_u32_e32 v7, 0x168, v32
	v_lshl_add_u64 v[12:13], v[4:5], 3, v[0:1]
	v_mad_u64_u32 v[4:5], s[2:3], s8, v7, 0
	v_mov_b32_e32 v6, v5
	v_mad_u64_u32 v[6:7], s[2:3], s9, v7, v[6:7]
	v_mov_b32_e32 v5, v6
	v_add_u32_e32 v7, 0x21c, v32
	v_lshl_add_u64 v[14:15], v[4:5], 3, v[0:1]
	v_mad_u64_u32 v[4:5], s[2:3], s8, v7, 0
	v_mov_b32_e32 v6, v5
	v_mad_u64_u32 v[6:7], s[2:3], s9, v7, v[6:7]
	v_mov_b32_e32 v5, v6
	v_add_u32_e32 v7, 0x2d0, v32
	v_lshl_add_u64 v[16:17], v[4:5], 3, v[0:1]
	v_mad_u64_u32 v[4:5], s[2:3], s8, v7, 0
	v_mov_b32_e32 v6, v5
	v_mad_u64_u32 v[6:7], s[2:3], s9, v7, v[6:7]
	v_mov_b32_e32 v5, v6
	v_lshl_add_u64 v[2:3], v[2:3], 3, v[0:1]
	v_lshl_add_u64 v[4:5], v[4:5], 3, v[0:1]
	v_add_u32_e32 v7, 0x384, v32
	global_load_dwordx2 v[2:3], v[2:3], off
	s_nop 0
	global_load_dwordx2 v[18:19], v[4:5], off
	v_mad_u64_u32 v[4:5], s[2:3], s8, v7, 0
	v_mov_b32_e32 v6, v5
	v_mad_u64_u32 v[6:7], s[2:3], s9, v7, v[6:7]
	v_mov_b32_e32 v5, v6
	v_add_u32_e32 v7, 0x438, v32
	v_lshl_add_u64 v[24:25], v[4:5], 3, v[0:1]
	v_mad_u64_u32 v[4:5], s[2:3], s8, v7, 0
	v_mov_b32_e32 v6, v5
	v_mad_u64_u32 v[6:7], s[2:3], s9, v7, v[6:7]
	v_mov_b32_e32 v5, v6
	v_lshl_add_u64 v[4:5], v[4:5], 3, v[0:1]
	v_add_u32_e32 v7, 0x4ec, v32
	global_load_dwordx2 v[28:29], v[4:5], off
	v_mad_u64_u32 v[4:5], s[2:3], s8, v7, 0
	v_mov_b32_e32 v6, v5
	v_mad_u64_u32 v[6:7], s[2:3], s9, v7, v[6:7]
	v_mov_b32_e32 v5, v6
	v_add_u32_e32 v7, 0x5a0, v32
	v_lshl_add_u64 v[30:31], v[4:5], 3, v[0:1]
	v_mad_u64_u32 v[4:5], s[2:3], s8, v7, 0
	v_mov_b32_e32 v6, v5
	v_mad_u64_u32 v[6:7], s[2:3], s9, v7, v[6:7]
	v_mov_b32_e32 v5, v6
	v_lshl_add_u64 v[4:5], v[4:5], 3, v[0:1]
	v_add_u32_e32 v7, 0x654, v32
	global_load_dwordx2 v[10:11], v[4:5], off
	v_mad_u64_u32 v[4:5], s[2:3], s8, v7, 0
	v_mov_b32_e32 v6, v5
	v_mad_u64_u32 v[6:7], s[2:3], s9, v7, v[6:7]
	v_mov_b32_e32 v5, v6
	v_lshl_add_u64 v[34:35], v[4:5], 3, v[0:1]
	global_load_dwordx2 v[6:7], v[16:17], off
	global_load_dwordx2 v[8:9], v[14:15], off
	;; [unrolled: 1-line block ×6, first 2 shown]
	s_waitcnt vmcnt(9)
	v_mov_b32_e32 v13, v3
	s_waitcnt vmcnt(8)
	v_mov_b32_e32 v12, v18
	v_mov_b32_e32 v18, v19
	s_waitcnt vmcnt(7)
	v_mov_b32_e32 v16, v28
	s_waitcnt vmcnt(6)
	v_mov_b32_e32 v17, v10
	v_mov_b32_e32 v10, v29
	s_waitcnt vmcnt(4)
	v_mov_b32_e32 v19, v9
.LBB0_13:
	s_or_b64 exec, exec, s[0:1]
	s_waitcnt vmcnt(3)
	v_pk_add_f32 v[14:15], v[6:7], v[4:5]
	s_waitcnt vmcnt(1)
	v_pk_add_f32 v[42:43], v[26:27], v[20:21] neg_lo:[0,1] neg_hi:[0,1]
	s_waitcnt vmcnt(0)
	v_pk_add_f32 v[28:29], v[22:23], v[6:7]
	s_mov_b32 s0, 0x3f737871
	v_pk_add_f32 v[14:15], v[26:27], v[14:15]
	v_pk_add_f32 v[40:41], v[6:7], v[22:23] neg_lo:[0,1] neg_hi:[0,1]
	v_pk_fma_f32 v[28:29], v[28:29], 0.5, v[4:5] op_sel_hi:[1,0,1] neg_lo:[1,0,0] neg_hi:[1,0,0]
	v_pk_mul_f32 v[48:49], v[42:43], s[0:1] op_sel_hi:[1,0]
	s_mov_b32 s2, 0x3f167918
	v_pk_add_f32 v[14:15], v[20:21], v[14:15]
	v_pk_add_f32 v[38:39], v[20:21], v[26:27]
	v_pk_add_f32 v[44:45], v[6:7], v[26:27] neg_lo:[0,1] neg_hi:[0,1]
	v_pk_add_f32 v[46:47], v[22:23], v[20:21] neg_lo:[0,1] neg_hi:[0,1]
	v_pk_add_f32 v[48:49], v[48:49], v[28:29] op_sel:[1,0] op_sel_hi:[0,1]
	v_pk_mul_f32 v[50:51], v[40:41], s[2:3] op_sel_hi:[1,0]
	v_pk_add_f32 v[6:7], v[26:27], v[6:7] neg_lo:[0,1] neg_hi:[0,1]
	v_pk_add_f32 v[20:21], v[20:21], v[22:23] neg_lo:[0,1] neg_hi:[0,1]
	s_mov_b32 s6, 0x3e9e377a
	v_pk_add_f32 v[48:49], v[48:49], v[50:51] op_sel:[0,1] op_sel_hi:[1,0] neg_lo:[0,1] neg_hi:[0,1]
	v_pk_add_f32 v[6:7], v[20:21], v[6:7]
	s_mov_b32 s7, 0x3f4f1bbd
	v_pk_mul_f32 v[20:21], v[6:7], s[6:7] op_sel_hi:[1,0]
	v_pk_fma_f32 v[26:27], v[6:7], s[6:7], v[48:49] op_sel_hi:[1,0,1]
	v_pk_fma_f32 v[6:7], v[42:43], s[0:1], v[28:29] op_sel:[0,0,1] op_sel_hi:[1,0,0] neg_lo:[1,0,0] neg_hi:[1,0,0]
	v_pk_fma_f32 v[4:5], v[38:39], 0.5, v[4:5] op_sel_hi:[1,0,1] neg_lo:[1,0,0] neg_hi:[1,0,0]
	v_pk_fma_f32 v[6:7], v[40:41], s[2:3], v[6:7] op_sel_hi:[1,0,1]
	v_add_f32_e32 v3, v8, v2
	v_pk_add_f32 v[28:29], v[20:21], v[6:7] op_sel:[1,0] op_sel_hi:[0,1]
	v_pk_mul_f32 v[6:7], v[40:41], s[0:1] op_sel_hi:[1,0]
	v_pk_mul_f32 v[20:21], v[42:43], s[2:3] op_sel_hi:[1,0]
	v_pk_add_f32 v[6:7], v[4:5], v[6:7] op_sel:[0,1] op_sel_hi:[1,0] neg_lo:[0,1] neg_hi:[0,1]
	v_pk_fma_f32 v[4:5], v[40:41], s[0:1], v[4:5] op_sel:[0,0,1] op_sel_hi:[1,0,0]
	v_pk_add_f32 v[6:7], v[6:7], v[20:21] op_sel:[0,1] op_sel_hi:[1,0] neg_lo:[0,1] neg_hi:[0,1]
	v_pk_add_f32 v[20:21], v[46:47], v[44:45]
	v_add_f32_e32 v3, v12, v3
	v_mov_b32_e32 v24, v17
	v_mov_b32_e32 v25, v16
	v_pk_add_f32 v[14:15], v[22:23], v[14:15]
	v_pk_mul_f32 v[22:23], v[20:21], s[6:7] op_sel_hi:[1,0]
	v_pk_fma_f32 v[4:5], v[42:43], s[2:3], v[4:5] op_sel_hi:[1,0,1]
	v_mov_b32_e32 v9, v12
	v_add_f32_e32 v3, v16, v3
	v_pk_fma_f32 v[20:21], v[20:21], s[6:7], v[6:7] op_sel_hi:[1,0,1]
	v_pk_add_f32 v[22:23], v[22:23], v[4:5] op_sel:[1,0] op_sel_hi:[0,1]
	v_pk_add_f32 v[4:5], v[24:25], v[8:9]
	v_mov_b32_e32 v6, v12
	v_mov_b32_e32 v7, v8
	v_add_f32_e32 v30, v17, v3
	v_pk_add_f32 v[34:35], v[18:19], v[10:11] neg_lo:[0,1] neg_hi:[0,1]
	v_pk_add_f32 v[36:37], v[16:17], v[24:25] neg_lo:[0,1] neg_hi:[0,1]
	v_pk_fma_f32 v[2:3], v[4:5], 0.5, v[2:3] op_sel_hi:[1,0,0] neg_lo:[1,0,0] neg_hi:[1,0,0]
	v_pk_add_f32 v[6:7], v[6:7], v[8:9] neg_lo:[0,1] neg_hi:[0,1]
	v_mov_b32_e32 v38, v26
	v_mov_b32_e32 v39, v20
	v_pk_add_f32 v[6:7], v[36:37], v[6:7]
	v_pk_fma_f32 v[36:37], v[34:35], s[0:1], v[2:3] op_sel_hi:[1,0,1] neg_lo:[1,0,0] neg_hi:[1,0,0]
	v_pk_fma_f32 v[2:3], v[34:35], s[0:1], v[2:3] op_sel_hi:[1,0,1]
	v_pk_mul_f32 v[38:39], v[38:39], s[6:7]
	v_mov_b32_e32 v40, v28
	v_mov_b32_e32 v41, v22
	s_mov_b32 s1, s2
	v_pk_mul_f32 v[4:5], v[34:35], s[2:3] op_sel_hi:[1,0]
	v_mov_b32_e32 v34, v2
	v_mov_b32_e32 v35, v37
	v_pk_fma_f32 v[38:39], v[40:41], s[0:1], v[38:39] neg_lo:[0,0,1] neg_hi:[0,0,1]
	v_mov_b32_e32 v40, v29
	v_mov_b32_e32 v41, v23
	;; [unrolled: 1-line block ×3, first 2 shown]
	v_pk_add_f32 v[34:35], v[34:35], v[4:5] op_sel:[0,1] op_sel_hi:[1,0] neg_lo:[0,1] neg_hi:[0,1]
	v_pk_mul_f32 v[40:41], v[40:41], s[6:7]
	v_mov_b32_e32 v42, v27
	v_mov_b32_e32 v43, v21
	v_pk_add_f32 v[2:3], v[4:5], v[36:37] op_sel:[1,0] op_sel_hi:[0,1]
	v_pk_fma_f32 v[34:35], v[6:7], s[6:7], v[34:35] op_sel_hi:[1,0,1]
	v_pk_fma_f32 v[42:43], v[42:43], s[0:1], v[40:41]
	v_pk_fma_f32 v[6:7], v[6:7], s[6:7], v[2:3] op_sel_hi:[1,0,1]
	v_mov_b32_e32 v36, v14
	v_pk_add_f32 v[2:3], v[6:7], v[42:43] neg_lo:[0,1] neg_hi:[0,1]
	v_mov_b32_e32 v37, v7
	v_mov_b32_e32 v31, v43
	;; [unrolled: 1-line block ×4, first 2 shown]
	v_mad_u32_u24 v40, v32, 40, 0
	v_pk_add_f32 v[36:37], v[36:37], v[30:31]
	v_pk_add_f32 v[6:7], v[6:7], v[42:43]
	v_pk_add_f32 v[4:5], v[34:35], v[38:39] neg_lo:[0,1] neg_hi:[0,1]
	ds_write2_b64 v40, v[36:37], v[6:7] offset1:1
	v_mov_b32_e32 v6, v35
	v_mov_b32_e32 v7, v30
	;; [unrolled: 1-line block ×5, first 2 shown]
	v_pk_add_f32 v[30:31], v[6:7], v[30:31]
	v_pk_add_f32 v[6:7], v[6:7], v[34:35] neg_lo:[0,1] neg_hi:[0,1]
	s_movk_i32 s0, 0xffdc
	v_mov_b32_e32 v31, v7
	v_mov_b32_e32 v6, v3
	v_mov_b32_e32 v7, v2
	v_mad_i32_i24 v9, v32, s0, v40
	ds_write2_b64 v40, v[30:31], v[6:7] offset0:2 offset1:3
	ds_write_b64 v40, v[4:5] offset:32
	s_waitcnt lgkmcnt(0)
	s_barrier
	ds_read_b32 v7, v9
	ds_read_b32 v39, v9 offset:1200
	ds_read_b32 v38, v9 offset:2400
	;; [unrolled: 1-line block ×5, first 2 shown]
	s_movk_i32 s0, 0x78
	s_movk_i32 s2, 0x77
	v_mul_i32_i24_e32 v6, 0xffffffdc, v32
	v_cmp_gt_u32_e64 s[0:1], s0, v32
	v_cmp_lt_u32_e64 s[2:3], s2, v32
	s_and_saveexec_b64 s[6:7], s[2:3]
	s_xor_b64 s[6:7], exec, s[6:7]
	s_or_saveexec_b64 s[6:7], s[6:7]
	v_add_u32_e32 v34, v40, v6
	v_lshl_add_u32 v35, v33, 2, 0
                                        ; implicit-def: $vgpr6
                                        ; implicit-def: $vgpr37
	s_xor_b64 exec, exec, s[6:7]
	s_cbranch_execz .LBB0_15
; %bb.14:
	ds_read_b32 v3, v35
	ds_read_b32 v2, v34 offset:1920
	ds_read_b32 v4, v34 offset:3120
	;; [unrolled: 1-line block ×5, first 2 shown]
.LBB0_15:
	s_or_b64 exec, exec, s[6:7]
	v_pk_add_f32 v[42:43], v[18:19], v[12:13]
	v_mov_b32_e32 v44, v11
	v_mov_b32_e32 v42, v43
	v_pk_add_f32 v[42:43], v[18:19], v[42:43]
	v_mov_b32_e32 v46, v11
	v_pk_add_f32 v[42:43], v[10:11], v[42:43]
	;; [unrolled: 2-line block ×3, first 2 shown]
	v_pk_add_f32 v[44:45], v[10:11], v[18:19]
	v_mov_b32_e32 v11, v18
	v_pk_add_f32 v[18:19], v[46:47], v[10:11] neg_lo:[0,1] neg_hi:[0,1]
	v_pk_add_f32 v[10:11], v[10:11], v[46:47] neg_lo:[0,1] neg_hi:[0,1]
	v_add_f32_e32 v9, v18, v19
	s_mov_b32 s6, 0xbf737871
	v_mul_f32_e32 v18, 0x3e9e377a, v9
	v_add_f32_e32 v9, v10, v11
	s_mov_b32 s7, 0x3e9e377a
	v_mul_f32_e32 v25, 0.5, v45
	v_mul_f32_e32 v10, 0x3e9e377a, v9
	v_mov_b32_e32 v9, v13
	s_mov_b32 s10, 0xbe9e377a
	s_mov_b32 s11, s6
	v_mul_f32_e32 v17, 0.5, v44
	v_pk_add_f32 v[8:9], v[8:9], v[24:25] neg_lo:[0,1] neg_hi:[0,1]
	v_pk_mul_f32 v[24:25], v[28:29], s[10:11]
	v_pk_add_f32 v[16:17], v[12:13], v[16:17] neg_lo:[0,1] neg_hi:[0,1]
	v_pk_fma_f32 v[24:25], v[26:27], s[6:7], v[24:25]
	s_mov_b32 s6, 0x3f167918
	v_mul_f32_e32 v13, 0x3f737871, v8
	v_mov_b32_e32 v12, 0x3f167918
	v_pk_mul_f32 v[26:27], v[16:17], s[6:7]
	v_pk_add_f32 v[28:29], v[16:17], v[12:13] neg_lo:[0,1] neg_hi:[0,1]
	v_fmamk_f32 v44, v8, 0x3f737871, v17
	v_mov_b32_e32 v45, v26
	v_pk_fma_f32 v[26:27], v[16:17], v[12:13], v[44:45]
	v_pk_add_f32 v[28:29], v[28:29], v[44:45] neg_lo:[0,1] neg_hi:[0,1]
	v_mul_f32_e32 v11, 0x3f737871, v16
	v_mov_b32_e32 v27, v29
	v_pk_add_f32 v[18:19], v[18:19], v[26:27] op_sel_hi:[0,1]
	v_mov_b32_e32 v13, v11
	v_pk_mul_f32 v[26:27], v[8:9], s[6:7]
	v_pk_add_f32 v[28:29], v[8:9], v[12:13]
	v_fmamk_f32 v16, v16, 0xbf737871, v9
	v_mov_b32_e32 v17, v26
	v_pk_fma_f32 v[8:9], v[8:9], v[12:13], v[16:17]
	v_pk_add_f32 v[12:13], v[28:29], v[16:17] neg_lo:[0,1] neg_hi:[0,1]
	s_mov_b32 s6, 0xbf167918
	v_mov_b32_e32 v9, v13
	s_mov_b32 s7, 0x3f4f1bbd
	s_mov_b32 s10, 0xbf4f1bbd
	;; [unrolled: 1-line block ×3, first 2 shown]
	v_pk_add_f32 v[8:9], v[10:11], v[8:9] op_sel_hi:[0,1]
	v_pk_mul_f32 v[10:11], v[22:23], s[10:11]
	s_waitcnt lgkmcnt(0)
	v_pk_fma_f32 v[12:13], v[20:21], s[6:7], v[10:11]
	v_mov_b32_e32 v10, v15
	v_mov_b32_e32 v11, v19
	;; [unrolled: 1-line block ×3, first 2 shown]
	v_pk_add_f32 v[16:17], v[10:11], v[42:43]
	v_pk_add_f32 v[20:21], v[8:9], v[24:25]
	v_mov_b32_e32 v11, v42
	v_pk_add_f32 v[22:23], v[18:19], v[12:13]
	v_pk_add_f32 v[14:15], v[10:11], v[14:15] neg_lo:[0,1] neg_hi:[0,1]
	v_pk_add_f32 v[10:11], v[8:9], v[24:25] neg_lo:[0,1] neg_hi:[0,1]
	;; [unrolled: 1-line block ×3, first 2 shown]
	v_mov_b32_e32 v12, v21
	v_mov_b32_e32 v13, v20
	s_barrier
	ds_write2_b64 v40, v[16:17], v[12:13] offset1:1
	v_mov_b32_e32 v23, v15
	v_mov_b32_e32 v12, v9
	;; [unrolled: 1-line block ×3, first 2 shown]
	ds_write2_b64 v40, v[22:23], v[12:13] offset0:2 offset1:3
	v_mov_b32_e32 v12, v10
	v_mov_b32_e32 v13, v8
	ds_write_b64 v40, v[12:13] offset:32
	s_waitcnt lgkmcnt(0)
	s_barrier
	ds_read_b32 v13, v34
	ds_read_b32 v24, v34 offset:1200
	ds_read_b32 v19, v34 offset:2400
	;; [unrolled: 1-line block ×5, first 2 shown]
	s_and_saveexec_b64 s[6:7], s[2:3]
	s_xor_b64 s[2:3], exec, s[6:7]
	s_or_saveexec_b64 s[2:3], s[2:3]
                                        ; implicit-def: $vgpr12
                                        ; implicit-def: $vgpr18
	s_xor_b64 exec, exec, s[2:3]
	s_cbranch_execz .LBB0_17
; %bb.16:
	ds_read_b32 v9, v35
	ds_read_b32 v11, v34 offset:1920
	ds_read_b32 v10, v34 offset:3120
	ds_read_b32 v8, v34 offset:4320
	ds_read_b32 v18, v34 offset:5520
	ds_read_b32 v12, v34 offset:6720
.LBB0_17:
	s_or_b64 exec, exec, s[2:3]
	s_movk_i32 s2, 0xcd
	v_mul_lo_u16_sdwa v17, v32, s2 dst_sel:DWORD dst_unused:UNUSED_PAD src0_sel:BYTE_0 src1_sel:DWORD
	v_lshrrev_b16_e32 v58, 11, v17
	s_mov_b32 s2, 0xcccd
	v_mul_lo_u16_e32 v17, 10, v58
	v_mul_u32_u24_sdwa v20, v33, s2 dst_sel:DWORD dst_unused:UNUSED_PAD src0_sel:WORD_0 src1_sel:DWORD
	v_sub_u16_e32 v59, v32, v17
	v_mov_b32_e32 v17, 5
	v_lshrrev_b32_e32 v60, 19, v20
	v_mul_u32_u24_sdwa v17, v59, v17 dst_sel:DWORD dst_unused:UNUSED_PAD src0_sel:BYTE_0 src1_sel:DWORD
	v_mul_lo_u16_e32 v20, 10, v60
	v_lshlrev_b32_e32 v17, 3, v17
	v_sub_u16_e32 v61, v33, v20
	global_load_dwordx4 v[40:43], v17, s[4:5]
	global_load_dwordx4 v[44:47], v17, s[4:5] offset:16
	global_load_dwordx2 v[28:29], v17, s[4:5] offset:32
	v_mul_u32_u24_e32 v17, 5, v61
	v_lshlrev_b32_e32 v17, 3, v17
	global_load_dwordx4 v[48:51], v17, s[4:5]
	global_load_dwordx4 v[52:55], v17, s[4:5] offset:16
	global_load_dwordx2 v[56:57], v17, s[4:5] offset:32
	s_mov_b32 s10, 0x3f5db3d7
	s_mov_b32 s6, 0xbf5db3d7
	s_mov_b32 s2, -0.5
	s_mov_b32 s7, 0.5
	s_waitcnt lgkmcnt(0)
	s_barrier
	s_waitcnt vmcnt(5)
	v_mul_f32_e32 v17, v24, v41
	v_mul_f32_e32 v20, v39, v41
	s_waitcnt vmcnt(4)
	v_mul_f32_e32 v41, v16, v45
	v_mul_f32_e32 v25, v19, v43
	;; [unrolled: 1-line block ×6, first 2 shown]
	s_waitcnt vmcnt(3)
	v_mul_f32_e32 v45, v14, v29
	v_fma_f32 v17, v39, v40, -v17
	v_mul_f32_e32 v22, v30, v29
	v_fmac_f32_e32 v20, v24, v40
	s_waitcnt vmcnt(2)
	v_mul_f32_e32 v29, v10, v51
	v_fma_f32 v36, v36, v44, -v41
	s_waitcnt vmcnt(1)
	v_pk_mul_f32 v[40:41], v[8:9], v[52:53] op_sel_hi:[0,1]
	v_fma_f32 v27, v38, v42, -v25
	v_mul_f32_e32 v24, v4, v51
	v_fmac_f32_e32 v23, v19, v42
	v_mul_f32_e32 v19, v18, v55
	v_mul_f32_e32 v25, v37, v55
	v_pk_mul_f32 v[38:39], v[10:11], v[48:49] op_sel:[1,0]
	v_fmac_f32_e32 v21, v16, v44
	v_fma_f32 v16, v31, v46, -v43
	v_fmac_f32_e32 v26, v15, v46
	v_fma_f32 v15, v30, v28, -v45
	;; [unrolled: 2-line block ×3, first 2 shown]
	v_pk_fma_f32 v[28:29], v[4:5], v[52:53], v[40:41] op_sel:[1,0,1] op_sel_hi:[1,1,0] neg_lo:[0,0,1] neg_hi:[0,0,1]
	v_pk_fma_f32 v[4:5], v[4:5], v[52:53], v[40:41] op_sel:[1,0,1] op_sel_hi:[1,1,0]
	v_fmac_f32_e32 v24, v10, v50
	v_fma_f32 v14, v37, v54, -v19
	v_fmac_f32_e32 v25, v18, v54
	v_pk_fma_f32 v[10:11], v[2:3], v[48:49], v[38:39] op_sel:[0,0,1] op_sel_hi:[1,1,0] neg_lo:[0,0,1] neg_hi:[0,0,1]
	v_pk_fma_f32 v[18:19], v[2:3], v[48:49], v[38:39] op_sel:[0,0,1] op_sel_hi:[0,1,0]
	v_add_f32_e32 v4, v27, v16
	v_add_f32_e32 v30, v17, v36
	;; [unrolled: 1-line block ×5, first 2 shown]
	v_sub_f32_e32 v37, v21, v22
	v_sub_f32_e32 v39, v36, v15
	v_fmac_f32_e32 v7, -0.5, v4
	v_add_f32_e32 v4, v30, v15
	v_fmac_f32_e32 v17, -0.5, v31
	v_fma_f32 v15, -0.5, v38, v20
	v_add_f32_e32 v2, v2, v16
	v_fmamk_f32 v30, v37, 0x3f5db3d7, v17
	v_fmac_f32_e32 v17, 0xbf5db3d7, v37
	v_fmamk_f32 v31, v39, 0xbf5db3d7, v15
	v_sub_f32_e32 v18, v23, v26
	v_add_f32_e32 v36, v8, v14
	v_fmac_f32_e32 v15, 0x3f5db3d7, v39
	v_add_f32_e32 v41, v2, v4
	v_sub_f32_e32 v42, v2, v4
	v_mul_f32_e32 v2, 0x3f5db3d7, v31
	v_mul_f32_e32 v4, -0.5, v17
	v_sub_f32_e32 v40, v24, v25
	v_mov_b32_e32 v29, v5
	v_fma_f32 v36, -0.5, v36, v3
	v_fmamk_f32 v5, v18, 0x3f5db3d7, v7
	v_fmac_f32_e32 v7, 0xbf5db3d7, v18
	v_fmac_f32_e32 v2, 0.5, v30
	v_fmac_f32_e32 v4, 0x3f5db3d7, v15
	v_fmamk_f32 v37, v40, 0x3f5db3d7, v36
	v_fmac_f32_e32 v36, 0xbf5db3d7, v40
	v_add_f32_e32 v40, v5, v2
	v_add_f32_e32 v43, v7, v4
	v_sub_f32_e32 v44, v5, v2
	v_sub_f32_e32 v45, v7, v4
	s_waitcnt vmcnt(0)
	v_pk_mul_f32 v[4:5], v[12:13], v[56:57] op_sel_hi:[0,1]
	v_mov_b32_e32 v11, v19
	v_pk_fma_f32 v[38:39], v[6:7], v[56:57], v[4:5] op_sel:[0,0,1] op_sel_hi:[1,1,0] neg_lo:[0,0,1] neg_hi:[0,0,1]
	v_pk_fma_f32 v[4:5], v[6:7], v[56:57], v[4:5] op_sel:[0,0,1] op_sel_hi:[0,1,0]
	v_mov_b32_e32 v39, v5
	v_pk_add_f32 v[4:5], v[10:11], v[28:29]
	s_nop 0
	v_pk_add_f32 v[18:19], v[4:5], v[38:39]
	v_pk_add_f32 v[4:5], v[28:29], v[38:39]
	s_nop 0
	v_pk_fma_f32 v[4:5], -0.5, v[4:5], v[10:11] op_sel_hi:[0,1,1]
	v_pk_add_f32 v[10:11], v[28:29], v[38:39] neg_lo:[0,1] neg_hi:[0,1]
	v_mov_b32_e32 v28, 2
	v_pk_mul_f32 v[6:7], v[10:11], s[10:11] op_sel_hi:[1,0]
	v_pk_fma_f32 v[10:11], v[10:11], s[10:11], v[4:5] op_sel:[0,0,1] op_sel_hi:[1,0,0]
	v_pk_add_f32 v[6:7], v[4:5], v[6:7] op_sel:[0,1] op_sel_hi:[1,0] neg_lo:[0,1] neg_hi:[0,1]
	v_mul_u32_u24_e32 v5, 0xf0, v58
	v_mul_f32_e32 v12, 0x3f5db3d7, v7
	v_mul_f32_e32 v38, -0.5, v6
	v_fmac_f32_e32 v12, 0.5, v11
	v_fmac_f32_e32 v38, 0x3f5db3d7, v10
	v_lshlrev_b32_sdwa v28, v28, v59 dst_sel:DWORD dst_unused:UNUSED_PAD src0_sel:DWORD src1_sel:BYTE_0
	v_sub_f32_e32 v2, v37, v12
	v_sub_f32_e32 v4, v36, v38
	v_add3_u32 v29, 0, v5, v28
	v_mul_lo_u16_e32 v5, 60, v60
	v_lshlrev_b32_e32 v28, 2, v61
	ds_write2_b32 v29, v41, v40 offset1:10
	ds_write2_b32 v29, v43, v42 offset0:20 offset1:30
	ds_write2_b32 v29, v44, v45 offset0:40 offset1:50
	s_and_saveexec_b64 s[10:11], s[0:1]
	s_cbranch_execz .LBB0_19
; %bb.18:
	v_add_f32_e32 v3, v3, v8
	v_add_f32_e32 v3, v3, v14
	v_sub_f32_e32 v39, v3, v18
	v_add_f32_e32 v3, v3, v18
	v_lshlrev_b32_e32 v18, 2, v5
	v_add_f32_e32 v12, v37, v12
	v_add3_u32 v18, 0, v28, v18
	v_add_f32_e32 v36, v36, v38
	ds_write2_b32 v18, v3, v12 offset1:10
	ds_write2_b32 v18, v36, v39 offset0:20 offset1:30
	ds_write2_b32 v18, v2, v4 offset0:40 offset1:50
.LBB0_19:
	s_or_b64 exec, exec, s[10:11]
	v_add_f32_e32 v12, v23, v26
	v_add_f32_e32 v3, v13, v23
	v_fmac_f32_e32 v13, -0.5, v12
	v_sub_f32_e32 v12, v27, v16
	v_fmamk_f32 v16, v12, 0xbf5db3d7, v13
	v_fmac_f32_e32 v13, 0x3f5db3d7, v12
	v_add_f32_e32 v12, v20, v21
	v_add_f32_e32 v3, v3, v26
	;; [unrolled: 1-line block ×4, first 2 shown]
	v_sub_f32_e32 v39, v3, v12
	v_add_f32_e32 v3, v24, v25
	v_mul_f32_e32 v15, -0.5, v15
	v_fma_f32 v12, -0.5, v3, v9
	v_sub_f32_e32 v3, v8, v14
	v_mul_f32_e32 v18, 0xbf5db3d7, v30
	v_fmac_f32_e32 v15, 0xbf5db3d7, v17
	v_mul_f32_e32 v8, 0x3f5db3d7, v3
	s_mov_b32 s3, s6
	v_lshl_add_u32 v3, v32, 2, 0
	v_fmac_f32_e32 v18, 0.5, v31
	v_add_f32_e32 v38, v13, v15
	v_sub_f32_e32 v41, v13, v15
	v_pk_add_f32 v[20:21], v[12:13], v[8:9]
	v_pk_add_f32 v[12:13], v[12:13], v[8:9] neg_lo:[0,1] neg_hi:[0,1]
	v_pk_mul_f32 v[10:11], v[10:11], s[2:3]
	v_add_u32_e32 v30, 0x500, v3
	v_add_u32_e32 v31, 0xb00, v34
	;; [unrolled: 1-line block ×4, first 2 shown]
	v_add_f32_e32 v37, v16, v18
	v_sub_f32_e32 v40, v16, v18
	v_mov_b32_e32 v21, v12
	v_pk_fma_f32 v[22:23], v[6:7], s[6:7], v[10:11]
	s_waitcnt lgkmcnt(0)
	s_barrier
	ds_read_b32 v18, v34
	ds_read_b32 v8, v35
	ds_read2_b32 v[16:17], v30 offset0:40 offset1:220
	ds_read2_b32 v[12:13], v31 offset0:16 offset1:196
	;; [unrolled: 1-line block ×4, first 2 shown]
	v_pk_add_f32 v[6:7], v[20:21], v[22:23] neg_lo:[0,1] neg_hi:[0,1]
	s_waitcnt lgkmcnt(0)
	s_barrier
	ds_write2_b32 v29, v36, v37 offset1:10
	ds_write2_b32 v29, v38, v39 offset0:20 offset1:30
	ds_write2_b32 v29, v40, v41 offset0:40 offset1:50
	s_and_saveexec_b64 s[2:3], s[0:1]
	s_cbranch_execz .LBB0_21
; %bb.20:
	v_add_f32_e32 v9, v9, v24
	v_add_f32_e32 v9, v9, v25
	v_lshlrev_b32_e32 v5, 2, v5
	v_add_f32_e32 v24, v9, v19
	v_pk_add_f32 v[20:21], v[20:21], v[22:23]
	v_add3_u32 v5, 0, v28, v5
	v_sub_f32_e32 v9, v9, v19
	ds_write2_b32 v5, v24, v21 offset1:10
	ds_write2_b32 v5, v20, v9 offset0:20 offset1:30
	ds_write2_b32 v5, v7, v6 offset0:40 offset1:50
.LBB0_21:
	s_or_b64 exec, exec, s[2:3]
	s_movk_i32 s0, 0x89
	v_mul_lo_u16_sdwa v5, v32, s0 dst_sel:DWORD dst_unused:UNUSED_PAD src0_sel:BYTE_0 src1_sel:DWORD
	v_lshrrev_b16_e32 v19, 13, v5
	v_mul_lo_u16_e32 v5, 60, v19
	v_sub_u16_e32 v59, v32, v5
	v_mov_b32_e32 v5, 9
	v_mul_u32_u24_sdwa v5, v59, v5 dst_sel:DWORD dst_unused:UNUSED_PAD src0_sel:BYTE_0 src1_sel:DWORD
	v_lshlrev_b32_e32 v9, 3, v5
	s_waitcnt lgkmcnt(0)
	s_barrier
	global_load_dwordx4 v[38:41], v9, s[4:5] offset:400
	global_load_dwordx4 v[42:45], v9, s[4:5] offset:416
	;; [unrolled: 1-line block ×4, first 2 shown]
	ds_read_b32 v5, v34
	ds_read_b32 v20, v35
	ds_read2_b32 v[22:23], v30 offset0:40 offset1:220
	ds_read2_b32 v[28:29], v31 offset0:16 offset1:196
	global_load_dwordx2 v[30:31], v9, s[4:5] offset:464
	ds_read2_b32 v[54:55], v26 offset0:56 offset1:236
	ds_read2_b32 v[56:57], v27 offset0:32 offset1:212
	v_mov_b32_e32 v60, v13
	v_mov_b32_e32 v58, v17
	;; [unrolled: 1-line block ×3, first 2 shown]
	s_waitcnt lgkmcnt(3)
	v_mov_b32_e32 v64, v23
	v_mov_b32_e32 v66, v23
	s_waitcnt lgkmcnt(2)
	v_mov_b32_e32 v68, v29
	s_mov_b32 s0, 0x3e9e377a
	s_mov_b32 s1, 0x3f167918
	s_mov_b32 s2, 0x3f737871
	s_mov_b32 s6, s1
	s_waitcnt lgkmcnt(0)
	s_barrier
	s_mov_b32 s11, 0xbf737871
	s_mov_b32 s10, 0xbf167918
	s_waitcnt vmcnt(4)
	v_mul_f32_e32 v13, v22, v41
	v_mul_f32_e32 v36, v16, v41
	v_pk_mul_f32 v[8:9], v[8:9], v[38:39] op_sel_hi:[0,1]
	v_fma_f32 v24, v16, v40, -v13
	s_waitcnt vmcnt(3)
	v_mul_f32_e32 v13, v28, v45
	v_fmac_f32_e32 v36, v22, v40
	v_pk_fma_f32 v[22:23], v[20:21], v[38:39], v[8:9] op_sel:[0,0,1] op_sel_hi:[0,1,0]
	v_pk_fma_f32 v[8:9], v[20:21], v[38:39], v[8:9] op_sel:[0,0,1] op_sel_hi:[0,1,0] neg_lo:[1,0,0] neg_hi:[1,0,0]
	v_mul_f32_e32 v25, v28, v44
	v_mul_f32_e32 v27, v12, v45
	v_fma_f32 v26, v12, v44, -v13
	s_waitcnt vmcnt(2)
	v_mul_f32_e32 v12, v54, v49
	v_mul_f32_e32 v17, v14, v49
	s_waitcnt vmcnt(1)
	v_mul_f32_e32 v20, v56, v53
	v_mov_b32_e32 v8, v29
	v_mov_b32_e32 v16, v55
	v_fma_f32 v38, v14, v48, -v12
	v_pk_mul_f32 v[12:13], v[58:59], v[42:43] op_sel_hi:[0,1]
	v_pk_mul_f32 v[14:15], v[60:61], v[46:47] op_sel_hi:[0,1]
	;; [unrolled: 1-line block ×3, first 2 shown]
	v_fmac_f32_e32 v17, v54, v48
	v_fma_f32 v39, v10, v52, -v20
	v_pk_add_f32 v[20:21], v[24:25], v[26:27]
	v_mul_f32_e32 v37, v10, v53
	v_pk_fma_f32 v[44:45], v[64:65], v[42:43], v[12:13] op_sel:[0,0,1] op_sel_hi:[1,1,0]
	v_pk_fma_f32 v[12:13], v[66:67], v[42:43], v[12:13] op_sel:[0,0,1] op_sel_hi:[0,1,0] neg_lo:[1,0,0] neg_hi:[1,0,0]
	v_pk_fma_f32 v[42:43], v[68:69], v[46:47], v[14:15] op_sel:[0,0,1] op_sel_hi:[1,1,0]
	v_pk_fma_f32 v[14:15], v[8:9], v[46:47], v[14:15] op_sel:[0,0,1] op_sel_hi:[0,1,0] neg_lo:[1,0,0] neg_hi:[1,0,0]
	v_pk_fma_f32 v[46:47], v[16:17], v[50:51], v[28:29] op_sel:[0,0,1] op_sel_hi:[1,1,0]
	v_sub_f32_e32 v16, v39, v38
	v_pk_add_f32 v[48:49], v[24:25], v[26:27] neg_lo:[0,1] neg_hi:[0,1]
	v_add_f32_e32 v20, v24, v39
	v_fmac_f32_e32 v37, v56, v52
	v_add_f32_e32 v10, v26, v38
	v_mov_b32_e32 v45, v13
	v_mov_b32_e32 v43, v15
	v_pk_add_f32 v[12:13], v[48:49], v[16:17]
	v_pk_add_f32 v[14:15], v[20:21], v[16:17] neg_lo:[0,1] neg_hi:[0,1]
	v_add_f32_e32 v8, v18, v24
	v_sub_f32_e32 v41, v36, v37
	v_fma_f32 v10, -0.5, v10, v18
	v_mov_b32_e32 v13, v15
	v_add_f32_e32 v8, v8, v26
	v_fmamk_f32 v16, v41, 0x3f737871, v10
	v_fmac_f32_e32 v10, 0xbf737871, v41
	v_pk_mul_f32 v[12:13], v[12:13], s[0:1]
	v_add_f32_e32 v8, v8, v38
	v_sub_f32_e32 v10, v10, v13
	v_mov_b32_e32 v40, v55
	v_add_f32_e32 v58, v8, v39
	v_add_f32_e32 v8, v13, v16
	;; [unrolled: 1-line block ×3, first 2 shown]
	v_mov_b32_e32 v10, v11
	v_add_f32_e32 v16, v12, v8
	v_pk_fma_f32 v[12:13], v[40:41], v[50:51], v[28:29] op_sel:[0,0,1] op_sel_hi:[0,1,0] neg_lo:[1,0,0] neg_hi:[1,0,0]
	v_mov_b32_e32 v8, v57
	s_waitcnt vmcnt(0)
	v_pk_mul_f32 v[10:11], v[10:11], v[30:31] op_sel_hi:[0,1]
	v_mov_b32_e32 v23, v9
	v_mov_b32_e32 v47, v13
	v_pk_fma_f32 v[12:13], v[8:9], v[30:31], v[10:11] op_sel:[0,0,1] op_sel_hi:[1,1,0]
	v_pk_fma_f32 v[10:11], v[8:9], v[30:31], v[10:11] op_sel:[0,0,1] op_sel_hi:[0,1,0] neg_lo:[1,0,0] neg_hi:[1,0,0]
	v_mov_b32_e32 v13, v11
	v_pk_add_f32 v[10:11], v[22:23], v[44:45]
	v_fmac_f32_e32 v18, -0.5, v20
	v_pk_add_f32 v[10:11], v[10:11], v[42:43]
	v_sub_f32_e32 v25, v26, v24
	v_sub_f32_e32 v27, v38, v39
	v_fmamk_f32 v20, v15, 0xbf737871, v18
	v_fmac_f32_e32 v18, 0x3f737871, v15
	v_pk_add_f32 v[10:11], v[10:11], v[46:47]
	v_add_f32_e32 v14, v25, v27
	v_fmac_f32_e32 v20, 0x3f167918, v41
	v_fmac_f32_e32 v18, 0xbf167918, v41
	v_pk_add_f32 v[28:29], v[10:11], v[12:13]
	v_pk_add_f32 v[10:11], v[42:43], v[46:47]
	v_pk_add_f32 v[40:41], v[44:45], v[12:13] neg_lo:[0,1] neg_hi:[0,1]
	v_fmac_f32_e32 v20, 0x3e9e377a, v14
	v_fmac_f32_e32 v18, 0x3e9e377a, v14
	v_pk_fma_f32 v[14:15], -0.5, v[10:11], v[22:23] op_sel_hi:[0,1,1]
	v_pk_mul_f32 v[30:31], v[40:41], s[2:3] op_sel_hi:[1,0]
	v_pk_add_f32 v[48:49], v[42:43], v[46:47] neg_lo:[0,1] neg_hi:[0,1]
	v_pk_add_f32 v[56:57], v[44:45], v[12:13]
	v_pk_add_f32 v[10:11], v[14:15], v[30:31] op_sel:[0,1] op_sel_hi:[1,0]
	v_pk_mul_f32 v[50:51], v[48:49], s[6:7] op_sel_hi:[1,0]
	v_fmac_f32_e32 v9, -0.5, v57
	v_pk_add_f32 v[52:53], v[50:51], v[10:11] op_sel:[1,0] op_sel_hi:[0,1]
	v_pk_add_f32 v[10:11], v[44:45], v[42:43] neg_lo:[0,1] neg_hi:[0,1]
	v_pk_add_f32 v[54:55], v[12:13], v[46:47] neg_lo:[0,1] neg_hi:[0,1]
	v_fmamk_f32 v23, v48, 0xbf737871, v9
	v_pk_add_f32 v[42:43], v[42:43], v[44:45] neg_lo:[0,1] neg_hi:[0,1]
	v_pk_add_f32 v[12:13], v[46:47], v[12:13] neg_lo:[0,1] neg_hi:[0,1]
	v_fmac_f32_e32 v9, 0x3f737871, v48
	v_fmac_f32_e32 v22, -0.5, v56
	v_pk_add_f32 v[54:55], v[10:11], v[54:55]
	v_pk_add_f32 v[12:13], v[42:43], v[12:13]
	v_fmac_f32_e32 v9, 0xbf167918, v40
	v_pk_add_f32 v[14:15], v[14:15], v[30:31] op_sel:[0,1] op_sel_hi:[1,0] neg_lo:[0,1] neg_hi:[0,1]
	v_fmamk_f32 v27, v49, 0x3f737871, v22
	v_fmac_f32_e32 v22, 0xbf737871, v49
	v_pk_mul_f32 v[10:11], v[54:55], s[0:1] op_sel_hi:[1,0]
	v_fmac_f32_e32 v9, 0x3e9e377a, v13
	v_pk_add_f32 v[14:15], v[14:15], v[50:51] op_sel:[0,1] op_sel_hi:[1,0] neg_lo:[0,1] neg_hi:[0,1]
	v_fmac_f32_e32 v27, 0xbf167918, v41
	v_fmac_f32_e32 v22, 0x3f167918, v41
	v_add_f32_e32 v11, v11, v53
	v_mov_b32_e32 v53, v15
	v_fmac_f32_e32 v27, 0x3e9e377a, v12
	v_fmac_f32_e32 v22, 0x3e9e377a, v12
	v_mul_f32_e32 v12, 0x3e9e377a, v9
	v_fmac_f32_e32 v23, 0x3f167918, v40
	v_add_f32_e32 v25, v10, v14
	v_pk_fma_f32 v[30:31], v[54:55], s[0:1], v[52:53] op_sel_hi:[1,0,1]
	s_mov_b32 s3, 0x3f4f1bbd
	v_fma_f32 v41, v22, s2, -v12
	s_mov_b32 s2, s1
	v_fmac_f32_e32 v23, 0x3e9e377a, v13
	v_mul_f32_e32 v8, 0x3f167918, v25
	v_pk_mul_f32 v[12:13], v[30:31], s[2:3]
	v_fmac_f32_e32 v8, 0x3f4f1bbd, v11
	v_sub_f32_e32 v12, v12, v13
	v_add_f32_e32 v14, v16, v8
	v_mul_f32_e32 v15, 0x3f737871, v27
	v_add_f32_e32 v13, v60, v12
	v_sub_f32_e32 v16, v16, v8
	v_sub_f32_e32 v8, v60, v12
	v_mul_u32_u24_e32 v12, 0x960, v19
	v_mov_b32_e32 v19, 2
	v_fmac_f32_e32 v15, 0x3e9e377a, v23
	v_lshlrev_b32_sdwa v19, v19, v59 dst_sel:DWORD dst_unused:UNUSED_PAD src0_sel:DWORD src1_sel:BYTE_0
	v_add_f32_e32 v10, v58, v29
	v_add_f32_e32 v40, v20, v15
	v_sub_f32_e32 v43, v58, v29
	v_add3_u32 v29, 0, v12, v19
	v_add_f32_e32 v42, v18, v41
	ds_write2_b32 v29, v10, v14 offset1:60
	ds_write2_b32 v29, v40, v42 offset0:120 offset1:180
	v_add_u32_e32 v40, 0x200, v29
	v_sub_f32_e32 v15, v20, v15
	v_sub_f32_e32 v18, v18, v41
	ds_write2_b32 v40, v13, v43 offset0:112 offset1:172
	v_add_u32_e32 v41, 0x400, v29
	v_add_u32_e32 v42, 0x600, v29
	v_add_u32_e32 v43, 0x900, v34
	v_add_u32_e32 v44, 0xf00, v34
	v_add_u32_e32 v45, 0x1500, v34
	ds_write2_b32 v41, v16, v15 offset0:104 offset1:164
	ds_write2_b32 v42, v18, v8 offset0:96 offset1:156
	s_waitcnt lgkmcnt(0)
	s_barrier
	ds_read2_b32 v[18:19], v43 offset0:24 offset1:204
	ds_read2_b32 v[14:15], v44 offset1:240
	ds_read_b32 v16, v35
	ds_read2_b32 v[12:13], v45 offset0:36 offset1:216
	ds_read_b32 v20, v34
	ds_read_b32 v10, v3 offset:1440
	v_cmp_lt_u32_e64 s[2:3], 59, v32
	v_cmp_gt_u32_e64 s[0:1], 60, v32
	s_and_saveexec_b64 s[6:7], s[0:1]
	s_cbranch_execz .LBB0_23
; %bb.22:
	ds_read_b32 v8, v3 offset:2160
	ds_read_b32 v2, v34 offset:4560
	;; [unrolled: 1-line block ×3, first 2 shown]
.LBB0_23:
	s_or_b64 exec, exec, s[6:7]
	v_add_f32_e32 v47, v21, v17
	v_fma_f32 v47, -0.5, v47, v5
	v_sub_f32_e32 v24, v24, v39
	v_fmamk_f32 v39, v24, 0xbf737871, v47
	v_sub_f32_e32 v26, v26, v38
	v_sub_f32_e32 v38, v36, v21
	;; [unrolled: 1-line block ×3, first 2 shown]
	v_fmac_f32_e32 v47, 0x3f737871, v24
	v_fmac_f32_e32 v39, 0xbf167918, v26
	v_add_f32_e32 v38, v38, v48
	v_fmac_f32_e32 v47, 0x3f167918, v26
	v_add_f32_e32 v46, v5, v36
	v_fmac_f32_e32 v39, 0x3e9e377a, v38
	v_fmac_f32_e32 v47, 0x3e9e377a, v38
	v_add_f32_e32 v38, v36, v37
	v_add_f32_e32 v46, v46, v21
	v_fmac_f32_e32 v5, -0.5, v38
	v_add_f32_e32 v46, v46, v17
	v_fmamk_f32 v38, v26, 0x3f737871, v5
	v_sub_f32_e32 v21, v21, v36
	v_sub_f32_e32 v17, v17, v37
	v_fmac_f32_e32 v5, 0xbf737871, v26
	v_fmac_f32_e32 v38, 0xbf167918, v24
	v_add_f32_e32 v17, v21, v17
	v_fmac_f32_e32 v5, 0x3f167918, v24
	v_mul_f32_e32 v11, 0xbf167918, v11
	v_mul_f32_e32 v23, 0xbf737871, v23
	;; [unrolled: 1-line block ×3, first 2 shown]
	v_add_f32_e32 v46, v46, v37
	v_fmac_f32_e32 v38, 0x3e9e377a, v17
	v_fmac_f32_e32 v5, 0x3e9e377a, v17
	;; [unrolled: 1-line block ×4, first 2 shown]
	v_fma_f32 v9, v9, s11, -v22
	v_mul_f32_e32 v25, 0x3f4f1bbd, v30
	v_add_f32_e32 v17, v46, v28
	v_add_f32_e32 v21, v39, v11
	;; [unrolled: 1-line block ×4, first 2 shown]
	v_fma_f32 v25, v31, s10, -v25
	v_sub_f32_e32 v11, v39, v11
	v_sub_f32_e32 v23, v38, v23
	v_add_f32_e32 v26, v47, v25
	v_sub_f32_e32 v27, v46, v28
	v_sub_f32_e32 v5, v5, v9
	;; [unrolled: 1-line block ×3, first 2 shown]
	s_waitcnt lgkmcnt(0)
	s_barrier
	ds_write2_b32 v29, v17, v21 offset1:60
	ds_write2_b32 v29, v24, v22 offset0:120 offset1:180
	ds_write2_b32 v40, v26, v27 offset0:112 offset1:172
	;; [unrolled: 1-line block ×4, first 2 shown]
	s_waitcnt lgkmcnt(0)
	s_barrier
	ds_read2_b32 v[28:29], v43 offset0:24 offset1:204
	ds_read2_b32 v[24:25], v44 offset1:240
	ds_read_b32 v17, v35
	ds_read2_b32 v[22:23], v45 offset0:36 offset1:216
	ds_read_b32 v21, v34
	ds_read_b32 v11, v3 offset:1440
	s_and_saveexec_b64 s[6:7], s[2:3]
	s_xor_b64 s[2:3], exec, s[6:7]
	s_cbranch_execnz .LBB0_27
; %bb.24:
	s_andn2_saveexec_b64 s[2:3], s[2:3]
	s_cbranch_execnz .LBB0_28
.LBB0_25:
	s_or_b64 exec, exec, s[2:3]
	s_and_saveexec_b64 s[2:3], vcc
	s_cbranch_execnz .LBB0_29
.LBB0_26:
	s_endpgm
.LBB0_27:
                                        ; implicit-def: $vgpr3
                                        ; implicit-def: $vgpr34
	s_andn2_saveexec_b64 s[2:3], s[2:3]
	s_cbranch_execz .LBB0_25
.LBB0_28:
	ds_read_b32 v9, v3 offset:2160
	ds_read_b32 v7, v34 offset:4560
	;; [unrolled: 1-line block ×3, first 2 shown]
	s_or_b64 exec, exec, s[2:3]
	s_and_saveexec_b64 s[2:3], vcc
	s_cbranch_execz .LBB0_26
.LBB0_29:
	v_add_u32_e32 v3, 0x168, v32
	v_lshlrev_b32_e32 v26, 1, v3
	v_mov_b32_e32 v27, 0
	v_lshl_add_u64 v[30:31], v[26:27], 3, s[4:5]
	v_lshlrev_b32_e32 v26, 1, v33
	v_lshl_add_u64 v[38:39], v[26:27], 3, s[4:5]
	v_lshlrev_b32_e32 v26, 1, v32
	v_lshl_add_u64 v[34:35], v[26:27], 3, s[4:5]
	s_movk_i32 s10, 0x1000
	v_add_co_u32_e32 v34, vcc, s10, v34
	v_mad_u64_u32 v[42:43], s[2:3], s8, v32, 0
	s_nop 0
	v_addc_co_u32_e32 v35, vcc, 0, v35, vcc
	global_load_dwordx4 v[34:37], v[34:35], off offset:624
	v_add_co_u32_e32 v38, vcc, s10, v38
	v_add_u32_e32 v5, 0x258, v32
	s_nop 0
	v_addc_co_u32_e32 v39, vcc, 0, v39, vcc
	global_load_dwordx4 v[38:41], v[38:39], off offset:624
	v_add_u32_e32 v33, 0x4b0, v32
	v_mov_b32_e32 v44, v43
	v_mad_u64_u32 v[50:51], s[6:7], s8, v5, 0
	s_waitcnt lgkmcnt(4)
	v_mov_b32_e32 v26, v25
	v_add_u32_e32 v25, 0x30c, v32
	v_mad_u64_u32 v[52:53], s[6:7], s8, v33, 0
	v_mad_u64_u32 v[44:45], s[6:7], s9, v32, v[44:45]
	v_mov_b32_e32 v58, v51
	v_mad_u64_u32 v[56:57], s[6:7], s8, v25, 0
	v_mov_b32_e32 v43, v44
	v_mov_b32_e32 v44, v53
	v_mad_u64_u32 v[58:59], s[6:7], s9, v5, v[58:59]
	v_mad_u64_u32 v[44:45], s[6:7], s9, v33, v[44:45]
	v_add_co_u32_e32 v30, vcc, s10, v30
	v_mov_b32_e32 v51, v58
	v_mov_b32_e32 v58, v57
	v_addc_co_u32_e32 v31, vcc, 0, v31, vcc
	v_mov_b32_e32 v53, v44
	v_mad_u64_u32 v[44:45], s[6:7], s9, v25, v[58:59]
	v_lshl_add_u64 v[58:59], v[42:43], 3, v[0:1]
	v_mov_b32_e32 v57, v44
	global_load_dwordx4 v[42:45], v[30:31], off offset:624
	v_mov_b32_e32 v46, v15
	v_mov_b32_e32 v48, v15
	v_add_u32_e32 v15, 0xb4, v32
	v_mad_u64_u32 v[54:55], s[6:7], s8, v15, 0
	v_mov_b32_e32 v60, v55
	v_mad_u64_u32 v[60:61], s[6:7], s9, v15, v[60:61]
	v_mov_b32_e32 v55, v60
	v_lshl_add_u64 v[30:31], v[50:51], 3, v[0:1]
	v_lshl_add_u64 v[50:51], v[52:53], 3, v[0:1]
	;; [unrolled: 1-line block ×4, first 2 shown]
	s_movk_i32 s3, 0x4b0
	s_mov_b32 s2, 0x3f5db3d7
	v_add_u32_e32 v65, 0x564, v32
	v_mad_u64_u32 v[62:63], s[6:7], s8, v65, 0
	v_mov_b32_e32 v64, v63
	s_waitcnt vmcnt(2)
	v_pk_mul_f32 v[56:57], v[28:29], v[34:35] op_sel_hi:[0,1]
	v_pk_mul_f32 v[60:61], v[26:27], v[36:37] op_sel_hi:[0,1]
	v_pk_fma_f32 v[46:47], v[46:47], v[36:37], v[60:61] op_sel:[0,0,1] op_sel_hi:[1,1,0] neg_lo:[0,0,1] neg_hi:[0,0,1]
	v_pk_fma_f32 v[36:37], v[48:49], v[36:37], v[60:61] op_sel:[0,0,1] op_sel_hi:[0,1,0]
	v_pk_fma_f32 v[48:49], v[18:19], v[34:35], v[56:57] op_sel:[0,0,1] op_sel_hi:[1,1,0] neg_lo:[0,0,1] neg_hi:[0,0,1]
	v_pk_fma_f32 v[34:35], v[18:19], v[34:35], v[56:57] op_sel:[0,0,1] op_sel_hi:[0,1,0]
	v_mov_b32_e32 v49, v35
	v_mov_b32_e32 v47, v37
	v_pk_add_f32 v[34:35], v[48:49], v[46:47]
	v_pk_add_f32 v[36:37], v[48:49], v[46:47] neg_lo:[0,1] neg_hi:[0,1]
	v_mov_b32_e32 v18, v29
	s_waitcnt lgkmcnt(1)
	v_pk_add_f32 v[48:49], v[20:21], v[48:49]
	v_pk_fma_f32 v[20:21], v[34:35], 0.5, v[20:21] op_sel_hi:[1,0,1] neg_lo:[1,0,0] neg_hi:[1,0,0]
	v_pk_mul_f32 v[34:35], v[36:37], s[2:3] op_sel_hi:[1,0]
	s_waitcnt vmcnt(1)
	v_pk_mul_f32 v[28:29], v[18:19], v[38:39] op_sel_hi:[0,1]
	v_mov_b32_e32 v18, v19
	v_mov_b32_e32 v26, v19
	v_pk_add_f32 v[36:37], v[48:49], v[46:47]
	v_pk_add_f32 v[46:47], v[20:21], v[34:35] op_sel:[0,1] op_sel_hi:[1,0] neg_lo:[0,1] neg_hi:[0,1]
	v_pk_add_f32 v[20:21], v[20:21], v[34:35] op_sel:[0,1] op_sel_hi:[1,0]
	v_pk_fma_f32 v[18:19], v[18:19], v[38:39], v[28:29] op_sel:[0,0,1] op_sel_hi:[1,1,0] neg_lo:[0,0,1] neg_hi:[0,0,1]
	v_pk_fma_f32 v[28:29], v[26:27], v[38:39], v[28:29] op_sel:[0,0,1] op_sel_hi:[0,1,0]
	v_mov_b32_e32 v34, v20
	v_mov_b32_e32 v35, v47
	;; [unrolled: 1-line block ×3, first 2 shown]
	v_pk_mul_f32 v[28:29], v[22:23], v[40:41] op_sel_hi:[0,1]
	global_store_dwordx2 v[58:59], v[36:37], off
	v_mov_b32_e32 v47, v21
	global_store_dwordx2 v[30:31], v[34:35], off
	global_store_dwordx2 v[50:51], v[46:47], off
	v_pk_fma_f32 v[30:31], v[12:13], v[40:41], v[28:29] op_sel:[0,0,1] op_sel_hi:[1,1,0] neg_lo:[0,0,1] neg_hi:[0,0,1]
	v_pk_fma_f32 v[28:29], v[12:13], v[40:41], v[28:29] op_sel:[0,0,1] op_sel_hi:[0,1,0]
	v_mad_u64_u32 v[20:21], s[6:7], s9, v65, v[64:65]
	v_mov_b32_e32 v31, v29
	v_pk_add_f32 v[28:29], v[18:19], v[30:31]
	v_pk_add_f32 v[34:35], v[18:19], v[30:31] neg_lo:[0,1] neg_hi:[0,1]
	s_mov_b32 s6, 0x1b4e81b5
	v_pk_fma_f32 v[28:29], v[28:29], 0.5, v[16:17] op_sel_hi:[1,0,1] neg_lo:[1,0,0] neg_hi:[1,0,0]
	v_pk_mul_f32 v[34:35], v[34:35], s[2:3] op_sel_hi:[1,0]
	v_pk_add_f32 v[16:17], v[16:17], v[18:19]
	v_mul_hi_u32 v5, v3, s6
	v_pk_add_f32 v[36:37], v[28:29], v[34:35] op_sel:[0,1] op_sel_hi:[1,0] neg_lo:[0,1] neg_hi:[0,1]
	v_pk_add_f32 v[28:29], v[28:29], v[34:35] op_sel:[0,1] op_sel_hi:[1,0]
	v_pk_add_f32 v[16:17], v[16:17], v[30:31]
	v_lshrrev_b32_e32 v5, 6, v5
	global_store_dwordx2 v[52:53], v[16:17], off
	v_mov_b32_e32 v16, v28
	v_mov_b32_e32 v17, v37
	v_mad_u32_u24 v3, v5, s3, v3
	global_store_dwordx2 v[54:55], v[16:17], off
	v_mad_u64_u32 v[16:17], s[6:7], s8, v3, 0
	v_mov_b32_e32 v12, v17
	v_mad_u64_u32 v[18:19], s[6:7], s9, v3, v[12:13]
	v_add_u32_e32 v5, 0x258, v3
	v_mov_b32_e32 v63, v20
	v_mov_b32_e32 v17, v18
	v_mad_u64_u32 v[18:19], s[6:7], s8, v5, 0
	v_lshl_add_u64 v[20:21], v[62:63], 3, v[0:1]
	v_mov_b32_e32 v37, v29
	v_mov_b32_e32 v12, v19
	global_store_dwordx2 v[20:21], v[36:37], off
	v_mad_u64_u32 v[20:21], s[6:7], s9, v5, v[12:13]
	v_add_u32_e32 v3, 0x4b0, v3
	v_mov_b32_e32 v19, v20
	v_mad_u64_u32 v[20:21], s[6:7], s8, v3, 0
	v_mov_b32_e32 v12, v21
	v_mad_u64_u32 v[28:29], s[6:7], s9, v3, v[12:13]
	s_waitcnt vmcnt(6)
	v_pk_mul_f32 v[24:25], v[24:25], v[42:43] op_sel_hi:[0,1]
	v_mov_b32_e32 v21, v28
	v_pk_fma_f32 v[28:29], v[14:15], v[42:43], v[24:25] op_sel:[0,0,1] op_sel_hi:[1,1,0] neg_lo:[0,0,1] neg_hi:[0,0,1]
	v_pk_fma_f32 v[14:15], v[14:15], v[42:43], v[24:25] op_sel:[0,0,1] op_sel_hi:[0,1,0]
	v_mov_b32_e32 v12, v23
	v_mov_b32_e32 v29, v15
	v_pk_mul_f32 v[14:15], v[12:13], v[44:45] op_sel_hi:[0,1]
	v_mov_b32_e32 v12, v13
	v_mov_b32_e32 v22, v13
	v_pk_fma_f32 v[12:13], v[12:13], v[44:45], v[14:15] op_sel:[0,0,1] op_sel_hi:[1,1,0] neg_lo:[0,0,1] neg_hi:[0,0,1]
	v_pk_fma_f32 v[14:15], v[22:23], v[44:45], v[14:15] op_sel:[0,0,1] op_sel_hi:[0,1,0]
	v_mov_b32_e32 v13, v15
	v_pk_add_f32 v[14:15], v[28:29], v[12:13]
	v_pk_add_f32 v[22:23], v[28:29], v[12:13] neg_lo:[0,1] neg_hi:[0,1]
	s_waitcnt lgkmcnt(0)
	v_pk_fma_f32 v[14:15], v[14:15], 0.5, v[10:11] op_sel_hi:[1,0,1] neg_lo:[1,0,0] neg_hi:[1,0,0]
	v_pk_mul_f32 v[22:23], v[22:23], s[2:3] op_sel_hi:[1,0]
	v_pk_add_f32 v[10:11], v[10:11], v[28:29]
	v_lshl_add_u64 v[16:17], v[16:17], 3, v[0:1]
	v_pk_add_f32 v[24:25], v[14:15], v[22:23] op_sel:[0,1] op_sel_hi:[1,0] neg_lo:[0,1] neg_hi:[0,1]
	v_pk_add_f32 v[14:15], v[14:15], v[22:23] op_sel:[0,1] op_sel_hi:[1,0]
	v_pk_add_f32 v[10:11], v[10:11], v[12:13]
	v_lshl_add_u64 v[18:19], v[18:19], 3, v[0:1]
	v_lshl_add_u64 v[20:21], v[20:21], 3, v[0:1]
	global_store_dwordx2 v[16:17], v[10:11], off
	v_mov_b32_e32 v10, v14
	v_mov_b32_e32 v11, v25
	;; [unrolled: 1-line block ×3, first 2 shown]
	global_store_dwordx2 v[18:19], v[10:11], off
	global_store_dwordx2 v[20:21], v[24:25], off
	s_and_b64 exec, exec, s[0:1]
	s_cbranch_execz .LBB0_26
; %bb.30:
	v_add_u32_e32 v3, 0x21c, v32
	v_subrev_u32_e32 v5, 60, v32
	v_cndmask_b32_e64 v5, v5, v3, s[0:1]
	v_lshlrev_b32_e32 v26, 1, v5
	v_lshl_add_u64 v[10:11], v[26:27], 3, s[4:5]
	v_add_co_u32_e32 v10, vcc, 0x1000, v10
	v_add_u32_e32 v5, 0x474, v32
	s_nop 0
	v_addc_co_u32_e32 v11, vcc, 0, v11, vcc
	global_load_dwordx4 v[10:13], v[10:11], off offset:624
	v_add_u32_e32 v25, 0x6cc, v32
	v_mad_u64_u32 v[14:15], s[0:1], s8, v3, 0
	v_mad_u64_u32 v[16:17], s[0:1], s8, v5, 0
	;; [unrolled: 1-line block ×3, first 2 shown]
	v_mov_b32_e32 v20, v15
	v_mov_b32_e32 v22, v17
	v_mov_b32_e32 v24, v19
	v_mad_u64_u32 v[20:21], s[0:1], s9, v3, v[20:21]
	v_mad_u64_u32 v[22:23], s[0:1], s9, v5, v[22:23]
	;; [unrolled: 1-line block ×3, first 2 shown]
	v_mov_b32_e32 v15, v20
	v_mov_b32_e32 v17, v22
	;; [unrolled: 1-line block ×3, first 2 shown]
	v_lshl_add_u64 v[14:15], v[14:15], 3, v[0:1]
	v_lshl_add_u64 v[16:17], v[16:17], 3, v[0:1]
	v_lshl_add_u64 v[0:1], v[18:19], 3, v[0:1]
	s_waitcnt vmcnt(0)
	v_pk_mul_f32 v[18:19], v[6:7], v[10:11] op_sel:[1,0]
	v_pk_mul_f32 v[6:7], v[6:7], v[12:13] op_sel_hi:[0,1]
	v_pk_fma_f32 v[20:21], v[2:3], v[10:11], v[18:19] op_sel:[0,0,1] op_sel_hi:[1,1,0] neg_lo:[0,0,1] neg_hi:[0,0,1]
	v_pk_fma_f32 v[2:3], v[2:3], v[10:11], v[18:19] op_sel:[0,0,1] op_sel_hi:[0,1,0]
	v_pk_fma_f32 v[10:11], v[4:5], v[12:13], v[6:7] op_sel:[0,0,1] op_sel_hi:[1,1,0] neg_lo:[0,0,1] neg_hi:[0,0,1]
	v_pk_fma_f32 v[4:5], v[4:5], v[12:13], v[6:7] op_sel:[0,0,1] op_sel_hi:[0,1,0]
	v_mov_b32_e32 v21, v3
	v_mov_b32_e32 v11, v5
	v_pk_add_f32 v[2:3], v[20:21], v[10:11]
	v_pk_add_f32 v[4:5], v[20:21], v[10:11] neg_lo:[0,1] neg_hi:[0,1]
	v_pk_fma_f32 v[2:3], -0.5, v[2:3], v[8:9] op_sel_hi:[0,1,1]
	v_pk_mul_f32 v[4:5], v[4:5], s[2:3] op_sel_hi:[1,0]
	v_pk_add_f32 v[6:7], v[8:9], v[20:21]
	v_pk_add_f32 v[8:9], v[2:3], v[4:5] op_sel:[0,1] op_sel_hi:[1,0]
	v_pk_add_f32 v[2:3], v[2:3], v[4:5] op_sel:[0,1] op_sel_hi:[1,0] neg_lo:[0,1] neg_hi:[0,1]
	v_pk_add_f32 v[6:7], v[6:7], v[10:11]
	v_mov_b32_e32 v4, v8
	v_mov_b32_e32 v5, v3
	global_store_dwordx2 v[14:15], v[6:7], off
	v_mov_b32_e32 v3, v9
	global_store_dwordx2 v[16:17], v[4:5], off
	global_store_dwordx2 v[0:1], v[2:3], off
	s_endpgm
	.section	.rodata,"a",@progbits
	.p2align	6, 0x0
	.amdhsa_kernel fft_rtc_fwd_len1800_factors_10_6_10_3_wgs_180_tpt_180_halfLds_sp_ip_CI_sbrr_dirReg
		.amdhsa_group_segment_fixed_size 0
		.amdhsa_private_segment_fixed_size 0
		.amdhsa_kernarg_size 88
		.amdhsa_user_sgpr_count 2
		.amdhsa_user_sgpr_dispatch_ptr 0
		.amdhsa_user_sgpr_queue_ptr 0
		.amdhsa_user_sgpr_kernarg_segment_ptr 1
		.amdhsa_user_sgpr_dispatch_id 0
		.amdhsa_user_sgpr_kernarg_preload_length 0
		.amdhsa_user_sgpr_kernarg_preload_offset 0
		.amdhsa_user_sgpr_private_segment_size 0
		.amdhsa_uses_dynamic_stack 0
		.amdhsa_enable_private_segment 0
		.amdhsa_system_sgpr_workgroup_id_x 1
		.amdhsa_system_sgpr_workgroup_id_y 0
		.amdhsa_system_sgpr_workgroup_id_z 0
		.amdhsa_system_sgpr_workgroup_info 0
		.amdhsa_system_vgpr_workitem_id 0
		.amdhsa_next_free_vgpr 70
		.amdhsa_next_free_sgpr 24
		.amdhsa_accum_offset 72
		.amdhsa_reserve_vcc 1
		.amdhsa_float_round_mode_32 0
		.amdhsa_float_round_mode_16_64 0
		.amdhsa_float_denorm_mode_32 3
		.amdhsa_float_denorm_mode_16_64 3
		.amdhsa_dx10_clamp 1
		.amdhsa_ieee_mode 1
		.amdhsa_fp16_overflow 0
		.amdhsa_tg_split 0
		.amdhsa_exception_fp_ieee_invalid_op 0
		.amdhsa_exception_fp_denorm_src 0
		.amdhsa_exception_fp_ieee_div_zero 0
		.amdhsa_exception_fp_ieee_overflow 0
		.amdhsa_exception_fp_ieee_underflow 0
		.amdhsa_exception_fp_ieee_inexact 0
		.amdhsa_exception_int_div_zero 0
	.end_amdhsa_kernel
	.text
.Lfunc_end0:
	.size	fft_rtc_fwd_len1800_factors_10_6_10_3_wgs_180_tpt_180_halfLds_sp_ip_CI_sbrr_dirReg, .Lfunc_end0-fft_rtc_fwd_len1800_factors_10_6_10_3_wgs_180_tpt_180_halfLds_sp_ip_CI_sbrr_dirReg
                                        ; -- End function
	.section	.AMDGPU.csdata,"",@progbits
; Kernel info:
; codeLenInByte = 7528
; NumSgprs: 30
; NumVgprs: 70
; NumAgprs: 0
; TotalNumVgprs: 70
; ScratchSize: 0
; MemoryBound: 0
; FloatMode: 240
; IeeeMode: 1
; LDSByteSize: 0 bytes/workgroup (compile time only)
; SGPRBlocks: 3
; VGPRBlocks: 8
; NumSGPRsForWavesPerEU: 30
; NumVGPRsForWavesPerEU: 70
; AccumOffset: 72
; Occupancy: 7
; WaveLimiterHint : 1
; COMPUTE_PGM_RSRC2:SCRATCH_EN: 0
; COMPUTE_PGM_RSRC2:USER_SGPR: 2
; COMPUTE_PGM_RSRC2:TRAP_HANDLER: 0
; COMPUTE_PGM_RSRC2:TGID_X_EN: 1
; COMPUTE_PGM_RSRC2:TGID_Y_EN: 0
; COMPUTE_PGM_RSRC2:TGID_Z_EN: 0
; COMPUTE_PGM_RSRC2:TIDIG_COMP_CNT: 0
; COMPUTE_PGM_RSRC3_GFX90A:ACCUM_OFFSET: 17
; COMPUTE_PGM_RSRC3_GFX90A:TG_SPLIT: 0
	.text
	.p2alignl 6, 3212836864
	.fill 256, 4, 3212836864
	.type	__hip_cuid_f1a4227c462cd3d,@object ; @__hip_cuid_f1a4227c462cd3d
	.section	.bss,"aw",@nobits
	.globl	__hip_cuid_f1a4227c462cd3d
__hip_cuid_f1a4227c462cd3d:
	.byte	0                               ; 0x0
	.size	__hip_cuid_f1a4227c462cd3d, 1

	.ident	"AMD clang version 19.0.0git (https://github.com/RadeonOpenCompute/llvm-project roc-6.4.0 25133 c7fe45cf4b819c5991fe208aaa96edf142730f1d)"
	.section	".note.GNU-stack","",@progbits
	.addrsig
	.addrsig_sym __hip_cuid_f1a4227c462cd3d
	.amdgpu_metadata
---
amdhsa.kernels:
  - .agpr_count:     0
    .args:
      - .actual_access:  read_only
        .address_space:  global
        .offset:         0
        .size:           8
        .value_kind:     global_buffer
      - .offset:         8
        .size:           8
        .value_kind:     by_value
      - .actual_access:  read_only
        .address_space:  global
        .offset:         16
        .size:           8
        .value_kind:     global_buffer
      - .actual_access:  read_only
        .address_space:  global
        .offset:         24
        .size:           8
        .value_kind:     global_buffer
      - .offset:         32
        .size:           8
        .value_kind:     by_value
      - .actual_access:  read_only
        .address_space:  global
        .offset:         40
        .size:           8
        .value_kind:     global_buffer
      - .actual_access:  read_only
        .address_space:  global
        .offset:         48
        .size:           8
        .value_kind:     global_buffer
      - .offset:         56
        .size:           4
        .value_kind:     by_value
      - .actual_access:  read_only
        .address_space:  global
        .offset:         64
        .size:           8
        .value_kind:     global_buffer
      - .actual_access:  read_only
        .address_space:  global
        .offset:         72
        .size:           8
        .value_kind:     global_buffer
      - .address_space:  global
        .offset:         80
        .size:           8
        .value_kind:     global_buffer
    .group_segment_fixed_size: 0
    .kernarg_segment_align: 8
    .kernarg_segment_size: 88
    .language:       OpenCL C
    .language_version:
      - 2
      - 0
    .max_flat_workgroup_size: 180
    .name:           fft_rtc_fwd_len1800_factors_10_6_10_3_wgs_180_tpt_180_halfLds_sp_ip_CI_sbrr_dirReg
    .private_segment_fixed_size: 0
    .sgpr_count:     30
    .sgpr_spill_count: 0
    .symbol:         fft_rtc_fwd_len1800_factors_10_6_10_3_wgs_180_tpt_180_halfLds_sp_ip_CI_sbrr_dirReg.kd
    .uniform_work_group_size: 1
    .uses_dynamic_stack: false
    .vgpr_count:     70
    .vgpr_spill_count: 0
    .wavefront_size: 64
amdhsa.target:   amdgcn-amd-amdhsa--gfx950
amdhsa.version:
  - 1
  - 2
...

	.end_amdgpu_metadata
